;; amdgpu-corpus repo=ROCm/aiter kind=compiled arch=gfx1030 opt=O3
	.amdgcn_target "amdgcn-amd-amdhsa--gfx1030"
	.amdhsa_code_object_version 6
	.text
	.protected	_Z11mdiv_kernelPKjPjS1_N4opus4mdivEi ; -- Begin function _Z11mdiv_kernelPKjPjS1_N4opus4mdivEi
	.globl	_Z11mdiv_kernelPKjPjS1_N4opus4mdivEi
	.p2align	8
	.type	_Z11mdiv_kernelPKjPjS1_N4opus4mdivEi,@function
_Z11mdiv_kernelPKjPjS1_N4opus4mdivEi:   ; @_Z11mdiv_kernelPKjPjS1_N4opus4mdivEi
; %bb.0:
	s_load_dword s0, s[4:5], 0x24
	v_lshl_add_u32 v0, s6, 8, v0
	s_waitcnt lgkmcnt(0)
	v_cmp_gt_i32_e32 vcc_lo, s0, v0
	s_and_saveexec_b32 s0, vcc_lo
	s_cbranch_execz .LBB0_2
; %bb.1:
	s_clause 0x1
	s_load_dwordx4 s[0:3], s[4:5], 0x0
	s_load_dwordx2 s[8:9], s[4:5], 0x10
	v_ashrrev_i32_e32 v1, 31, v0
	s_load_dwordx4 s[4:7], s[4:5], 0x18
	v_lshlrev_b64 v[0:1], 2, v[0:1]
	s_waitcnt lgkmcnt(0)
	v_add_co_u32 v2, vcc_lo, s0, v0
	v_add_co_ci_u32_e64 v3, null, s1, v1, vcc_lo
	global_load_dword v4, v[2:3], off
	s_waitcnt vmcnt(0)
	v_mul_hi_u32 v2, v4, s5
	v_add_nc_u32_e32 v2, v4, v2
	v_lshrrev_b32_e32 v5, s6, v2
	v_add_co_u32 v2, vcc_lo, s2, v0
	v_add_co_ci_u32_e64 v3, null, s3, v1, vcc_lo
	v_mul_lo_u32 v6, v5, s4
	v_add_co_u32 v0, vcc_lo, s8, v0
	v_add_co_ci_u32_e64 v1, null, s9, v1, vcc_lo
	v_sub_nc_u32_e32 v4, v4, v6
	global_store_dword v[2:3], v5, off
	global_store_dword v[0:1], v4, off
.LBB0_2:
	s_endpgm
	.section	.rodata,"a",@progbits
	.p2align	6, 0x0
	.amdhsa_kernel _Z11mdiv_kernelPKjPjS1_N4opus4mdivEi
		.amdhsa_group_segment_fixed_size 0
		.amdhsa_private_segment_fixed_size 0
		.amdhsa_kernarg_size 40
		.amdhsa_user_sgpr_count 6
		.amdhsa_user_sgpr_private_segment_buffer 1
		.amdhsa_user_sgpr_dispatch_ptr 0
		.amdhsa_user_sgpr_queue_ptr 0
		.amdhsa_user_sgpr_kernarg_segment_ptr 1
		.amdhsa_user_sgpr_dispatch_id 0
		.amdhsa_user_sgpr_flat_scratch_init 0
		.amdhsa_user_sgpr_private_segment_size 0
		.amdhsa_wavefront_size32 1
		.amdhsa_uses_dynamic_stack 0
		.amdhsa_system_sgpr_private_segment_wavefront_offset 0
		.amdhsa_system_sgpr_workgroup_id_x 1
		.amdhsa_system_sgpr_workgroup_id_y 0
		.amdhsa_system_sgpr_workgroup_id_z 0
		.amdhsa_system_sgpr_workgroup_info 0
		.amdhsa_system_vgpr_workitem_id 0
		.amdhsa_next_free_vgpr 7
		.amdhsa_next_free_sgpr 10
		.amdhsa_reserve_vcc 1
		.amdhsa_reserve_flat_scratch 0
		.amdhsa_float_round_mode_32 0
		.amdhsa_float_round_mode_16_64 0
		.amdhsa_float_denorm_mode_32 3
		.amdhsa_float_denorm_mode_16_64 3
		.amdhsa_dx10_clamp 1
		.amdhsa_ieee_mode 1
		.amdhsa_fp16_overflow 0
		.amdhsa_workgroup_processor_mode 1
		.amdhsa_memory_ordered 1
		.amdhsa_forward_progress 1
		.amdhsa_shared_vgpr_count 0
		.amdhsa_exception_fp_ieee_invalid_op 0
		.amdhsa_exception_fp_denorm_src 0
		.amdhsa_exception_fp_ieee_div_zero 0
		.amdhsa_exception_fp_ieee_overflow 0
		.amdhsa_exception_fp_ieee_underflow 0
		.amdhsa_exception_fp_ieee_inexact 0
		.amdhsa_exception_int_div_zero 0
	.end_amdhsa_kernel
	.text
.Lfunc_end0:
	.size	_Z11mdiv_kernelPKjPjS1_N4opus4mdivEi, .Lfunc_end0-_Z11mdiv_kernelPKjPjS1_N4opus4mdivEi
                                        ; -- End function
	.set _Z11mdiv_kernelPKjPjS1_N4opus4mdivEi.num_vgpr, 7
	.set _Z11mdiv_kernelPKjPjS1_N4opus4mdivEi.num_agpr, 0
	.set _Z11mdiv_kernelPKjPjS1_N4opus4mdivEi.numbered_sgpr, 10
	.set _Z11mdiv_kernelPKjPjS1_N4opus4mdivEi.num_named_barrier, 0
	.set _Z11mdiv_kernelPKjPjS1_N4opus4mdivEi.private_seg_size, 0
	.set _Z11mdiv_kernelPKjPjS1_N4opus4mdivEi.uses_vcc, 1
	.set _Z11mdiv_kernelPKjPjS1_N4opus4mdivEi.uses_flat_scratch, 0
	.set _Z11mdiv_kernelPKjPjS1_N4opus4mdivEi.has_dyn_sized_stack, 0
	.set _Z11mdiv_kernelPKjPjS1_N4opus4mdivEi.has_recursion, 0
	.set _Z11mdiv_kernelPKjPjS1_N4opus4mdivEi.has_indirect_call, 0
	.section	.AMDGPU.csdata,"",@progbits
; Kernel info:
; codeLenInByte = 184
; TotalNumSgprs: 12
; NumVgprs: 7
; ScratchSize: 0
; MemoryBound: 0
; FloatMode: 240
; IeeeMode: 1
; LDSByteSize: 0 bytes/workgroup (compile time only)
; SGPRBlocks: 0
; VGPRBlocks: 0
; NumSGPRsForWavesPerEU: 12
; NumVGPRsForWavesPerEU: 7
; Occupancy: 16
; WaveLimiterHint : 0
; COMPUTE_PGM_RSRC2:SCRATCH_EN: 0
; COMPUTE_PGM_RSRC2:USER_SGPR: 6
; COMPUTE_PGM_RSRC2:TRAP_HANDLER: 0
; COMPUTE_PGM_RSRC2:TGID_X_EN: 1
; COMPUTE_PGM_RSRC2:TGID_Y_EN: 0
; COMPUTE_PGM_RSRC2:TGID_Z_EN: 0
; COMPUTE_PGM_RSRC2:TIDIG_COMP_CNT: 0
	.text
	.p2alignl 6, 3214868480
	.fill 48, 4, 3214868480
	.section	.AMDGPU.gpr_maximums,"",@progbits
	.set amdgpu.max_num_vgpr, 0
	.set amdgpu.max_num_agpr, 0
	.set amdgpu.max_num_sgpr, 0
	.text
	.type	__hip_cuid_8ad496d6c8a6049a,@object ; @__hip_cuid_8ad496d6c8a6049a
	.section	.bss,"aw",@nobits
	.globl	__hip_cuid_8ad496d6c8a6049a
__hip_cuid_8ad496d6c8a6049a:
	.byte	0                               ; 0x0
	.size	__hip_cuid_8ad496d6c8a6049a, 1

	.ident	"AMD clang version 22.0.0git (https://github.com/RadeonOpenCompute/llvm-project roc-7.2.4 26084 f58b06dce1f9c15707c5f808fd002e18c2accf7e)"
	.section	".note.GNU-stack","",@progbits
	.addrsig
	.addrsig_sym __hip_cuid_8ad496d6c8a6049a
	.amdgpu_metadata
---
amdhsa.kernels:
  - .args:
      - .actual_access:  read_only
        .address_space:  global
        .offset:         0
        .size:           8
        .value_kind:     global_buffer
      - .actual_access:  write_only
        .address_space:  global
        .offset:         8
        .size:           8
        .value_kind:     global_buffer
      - .actual_access:  write_only
        .address_space:  global
        .offset:         16
        .size:           8
        .value_kind:     global_buffer
      - .offset:         24
        .size:           12
        .value_kind:     by_value
      - .offset:         36
        .size:           4
        .value_kind:     by_value
    .group_segment_fixed_size: 0
    .kernarg_segment_align: 8
    .kernarg_segment_size: 40
    .language:       OpenCL C
    .language_version:
      - 2
      - 0
    .max_flat_workgroup_size: 1024
    .name:           _Z11mdiv_kernelPKjPjS1_N4opus4mdivEi
    .private_segment_fixed_size: 0
    .sgpr_count:     12
    .sgpr_spill_count: 0
    .symbol:         _Z11mdiv_kernelPKjPjS1_N4opus4mdivEi.kd
    .uniform_work_group_size: 1
    .uses_dynamic_stack: false
    .vgpr_count:     7
    .vgpr_spill_count: 0
    .wavefront_size: 32
    .workgroup_processor_mode: 1
amdhsa.target:   amdgcn-amd-amdhsa--gfx1030
amdhsa.version:
  - 1
  - 2
...

	.end_amdgpu_metadata
